;; amdgpu-corpus repo=ROCm/rocFFT kind=compiled arch=gfx906 opt=O3
	.text
	.amdgcn_target "amdgcn-amd-amdhsa--gfx906"
	.amdhsa_code_object_version 6
	.protected	fft_rtc_back_len1210_factors_2_5_11_11_wgs_110_tpt_110_halfLds_sp_op_CI_CI_sbrr_dirReg ; -- Begin function fft_rtc_back_len1210_factors_2_5_11_11_wgs_110_tpt_110_halfLds_sp_op_CI_CI_sbrr_dirReg
	.globl	fft_rtc_back_len1210_factors_2_5_11_11_wgs_110_tpt_110_halfLds_sp_op_CI_CI_sbrr_dirReg
	.p2align	8
	.type	fft_rtc_back_len1210_factors_2_5_11_11_wgs_110_tpt_110_halfLds_sp_op_CI_CI_sbrr_dirReg,@function
fft_rtc_back_len1210_factors_2_5_11_11_wgs_110_tpt_110_halfLds_sp_op_CI_CI_sbrr_dirReg: ; @fft_rtc_back_len1210_factors_2_5_11_11_wgs_110_tpt_110_halfLds_sp_op_CI_CI_sbrr_dirReg
; %bb.0:
	s_load_dwordx4 s[16:19], s[4:5], 0x18
	s_load_dwordx4 s[12:15], s[4:5], 0x0
	;; [unrolled: 1-line block ×3, first 2 shown]
	v_mul_u32_u24_e32 v1, 0x254, v0
	v_mov_b32_e32 v7, 0
	s_waitcnt lgkmcnt(0)
	s_load_dwordx2 s[2:3], s[16:17], 0x0
	s_load_dwordx2 s[20:21], s[18:19], 0x0
	v_cmp_lt_u64_e64 s[0:1], s[14:15], 2
	v_mov_b32_e32 v5, 0
	v_add_u32_sdwa v9, s6, v1 dst_sel:DWORD dst_unused:UNUSED_PAD src0_sel:DWORD src1_sel:WORD_1
	v_mov_b32_e32 v10, v7
	s_and_b64 vcc, exec, s[0:1]
	v_mov_b32_e32 v6, 0
	s_cbranch_vccnz .LBB0_8
; %bb.1:
	s_load_dwordx2 s[0:1], s[4:5], 0x10
	s_add_u32 s6, s18, 8
	s_addc_u32 s7, s19, 0
	s_add_u32 s22, s16, 8
	s_addc_u32 s23, s17, 0
	v_mov_b32_e32 v5, 0
	s_waitcnt lgkmcnt(0)
	s_add_u32 s24, s0, 8
	v_mov_b32_e32 v6, 0
	v_mov_b32_e32 v1, v5
	s_addc_u32 s25, s1, 0
	s_mov_b64 s[26:27], 1
	v_mov_b32_e32 v2, v6
.LBB0_2:                                ; =>This Inner Loop Header: Depth=1
	s_load_dwordx2 s[28:29], s[24:25], 0x0
                                        ; implicit-def: $vgpr3_vgpr4
	s_waitcnt lgkmcnt(0)
	v_or_b32_e32 v8, s29, v10
	v_cmp_ne_u64_e32 vcc, 0, v[7:8]
	s_and_saveexec_b64 s[0:1], vcc
	s_xor_b64 s[30:31], exec, s[0:1]
	s_cbranch_execz .LBB0_4
; %bb.3:                                ;   in Loop: Header=BB0_2 Depth=1
	v_cvt_f32_u32_e32 v3, s28
	v_cvt_f32_u32_e32 v4, s29
	s_sub_u32 s0, 0, s28
	s_subb_u32 s1, 0, s29
	v_mac_f32_e32 v3, 0x4f800000, v4
	v_rcp_f32_e32 v3, v3
	v_mul_f32_e32 v3, 0x5f7ffffc, v3
	v_mul_f32_e32 v4, 0x2f800000, v3
	v_trunc_f32_e32 v4, v4
	v_mac_f32_e32 v3, 0xcf800000, v4
	v_cvt_u32_f32_e32 v4, v4
	v_cvt_u32_f32_e32 v3, v3
	v_mul_lo_u32 v8, s0, v4
	v_mul_hi_u32 v11, s0, v3
	v_mul_lo_u32 v13, s1, v3
	v_mul_lo_u32 v12, s0, v3
	v_add_u32_e32 v8, v11, v8
	v_add_u32_e32 v8, v8, v13
	v_mul_hi_u32 v11, v3, v12
	v_mul_lo_u32 v13, v3, v8
	v_mul_hi_u32 v15, v3, v8
	v_mul_hi_u32 v14, v4, v12
	v_mul_lo_u32 v12, v4, v12
	v_mul_hi_u32 v16, v4, v8
	v_add_co_u32_e32 v11, vcc, v11, v13
	v_addc_co_u32_e32 v13, vcc, 0, v15, vcc
	v_mul_lo_u32 v8, v4, v8
	v_add_co_u32_e32 v11, vcc, v11, v12
	v_addc_co_u32_e32 v11, vcc, v13, v14, vcc
	v_addc_co_u32_e32 v12, vcc, 0, v16, vcc
	v_add_co_u32_e32 v8, vcc, v11, v8
	v_addc_co_u32_e32 v11, vcc, 0, v12, vcc
	v_add_co_u32_e32 v3, vcc, v3, v8
	v_addc_co_u32_e32 v4, vcc, v4, v11, vcc
	v_mul_lo_u32 v8, s0, v4
	v_mul_hi_u32 v11, s0, v3
	v_mul_lo_u32 v12, s1, v3
	v_mul_lo_u32 v13, s0, v3
	v_add_u32_e32 v8, v11, v8
	v_add_u32_e32 v8, v8, v12
	v_mul_lo_u32 v14, v3, v8
	v_mul_hi_u32 v15, v3, v13
	v_mul_hi_u32 v16, v3, v8
	;; [unrolled: 1-line block ×3, first 2 shown]
	v_mul_lo_u32 v13, v4, v13
	v_mul_hi_u32 v11, v4, v8
	v_add_co_u32_e32 v14, vcc, v15, v14
	v_addc_co_u32_e32 v15, vcc, 0, v16, vcc
	v_mul_lo_u32 v8, v4, v8
	v_add_co_u32_e32 v13, vcc, v14, v13
	v_addc_co_u32_e32 v12, vcc, v15, v12, vcc
	v_addc_co_u32_e32 v11, vcc, 0, v11, vcc
	v_add_co_u32_e32 v8, vcc, v12, v8
	v_addc_co_u32_e32 v11, vcc, 0, v11, vcc
	v_add_co_u32_e32 v8, vcc, v3, v8
	v_addc_co_u32_e32 v11, vcc, v4, v11, vcc
	v_mad_u64_u32 v[3:4], s[0:1], v9, v11, 0
	v_mul_hi_u32 v12, v9, v8
	v_add_co_u32_e32 v13, vcc, v12, v3
	v_addc_co_u32_e32 v14, vcc, 0, v4, vcc
	v_mad_u64_u32 v[3:4], s[0:1], v10, v8, 0
	v_mad_u64_u32 v[11:12], s[0:1], v10, v11, 0
	v_add_co_u32_e32 v3, vcc, v13, v3
	v_addc_co_u32_e32 v3, vcc, v14, v4, vcc
	v_addc_co_u32_e32 v4, vcc, 0, v12, vcc
	v_add_co_u32_e32 v8, vcc, v3, v11
	v_addc_co_u32_e32 v11, vcc, 0, v4, vcc
	v_mul_lo_u32 v12, s29, v8
	v_mul_lo_u32 v13, s28, v11
	v_mad_u64_u32 v[3:4], s[0:1], s28, v8, 0
	v_add3_u32 v4, v4, v13, v12
	v_sub_u32_e32 v12, v10, v4
	v_mov_b32_e32 v13, s29
	v_sub_co_u32_e32 v3, vcc, v9, v3
	v_subb_co_u32_e64 v12, s[0:1], v12, v13, vcc
	v_subrev_co_u32_e64 v13, s[0:1], s28, v3
	v_subbrev_co_u32_e64 v12, s[0:1], 0, v12, s[0:1]
	v_cmp_le_u32_e64 s[0:1], s29, v12
	v_cndmask_b32_e64 v14, 0, -1, s[0:1]
	v_cmp_le_u32_e64 s[0:1], s28, v13
	v_cndmask_b32_e64 v13, 0, -1, s[0:1]
	v_cmp_eq_u32_e64 s[0:1], s29, v12
	v_cndmask_b32_e64 v12, v14, v13, s[0:1]
	v_add_co_u32_e64 v13, s[0:1], 2, v8
	v_addc_co_u32_e64 v14, s[0:1], 0, v11, s[0:1]
	v_add_co_u32_e64 v15, s[0:1], 1, v8
	v_addc_co_u32_e64 v16, s[0:1], 0, v11, s[0:1]
	v_subb_co_u32_e32 v4, vcc, v10, v4, vcc
	v_cmp_ne_u32_e64 s[0:1], 0, v12
	v_cmp_le_u32_e32 vcc, s29, v4
	v_cndmask_b32_e64 v12, v16, v14, s[0:1]
	v_cndmask_b32_e64 v14, 0, -1, vcc
	v_cmp_le_u32_e32 vcc, s28, v3
	v_cndmask_b32_e64 v3, 0, -1, vcc
	v_cmp_eq_u32_e32 vcc, s29, v4
	v_cndmask_b32_e32 v3, v14, v3, vcc
	v_cmp_ne_u32_e32 vcc, 0, v3
	v_cndmask_b32_e64 v3, v15, v13, s[0:1]
	v_cndmask_b32_e32 v4, v11, v12, vcc
	v_cndmask_b32_e32 v3, v8, v3, vcc
.LBB0_4:                                ;   in Loop: Header=BB0_2 Depth=1
	s_andn2_saveexec_b64 s[0:1], s[30:31]
	s_cbranch_execz .LBB0_6
; %bb.5:                                ;   in Loop: Header=BB0_2 Depth=1
	v_cvt_f32_u32_e32 v3, s28
	s_sub_i32 s30, 0, s28
	v_rcp_iflag_f32_e32 v3, v3
	v_mul_f32_e32 v3, 0x4f7ffffe, v3
	v_cvt_u32_f32_e32 v3, v3
	v_mul_lo_u32 v4, s30, v3
	v_mul_hi_u32 v4, v3, v4
	v_add_u32_e32 v3, v3, v4
	v_mul_hi_u32 v3, v9, v3
	v_mul_lo_u32 v4, v3, s28
	v_add_u32_e32 v8, 1, v3
	v_sub_u32_e32 v4, v9, v4
	v_subrev_u32_e32 v11, s28, v4
	v_cmp_le_u32_e32 vcc, s28, v4
	v_cndmask_b32_e32 v4, v4, v11, vcc
	v_cndmask_b32_e32 v3, v3, v8, vcc
	v_add_u32_e32 v8, 1, v3
	v_cmp_le_u32_e32 vcc, s28, v4
	v_cndmask_b32_e32 v3, v3, v8, vcc
	v_mov_b32_e32 v4, v7
.LBB0_6:                                ;   in Loop: Header=BB0_2 Depth=1
	s_or_b64 exec, exec, s[0:1]
	v_mul_lo_u32 v8, v4, s28
	v_mul_lo_u32 v13, v3, s29
	v_mad_u64_u32 v[11:12], s[0:1], v3, s28, 0
	s_load_dwordx2 s[0:1], s[22:23], 0x0
	s_load_dwordx2 s[28:29], s[6:7], 0x0
	v_add3_u32 v8, v12, v13, v8
	v_sub_co_u32_e32 v9, vcc, v9, v11
	v_subb_co_u32_e32 v8, vcc, v10, v8, vcc
	s_waitcnt lgkmcnt(0)
	v_mul_lo_u32 v10, s0, v8
	v_mul_lo_u32 v11, s1, v9
	v_mad_u64_u32 v[5:6], s[0:1], s0, v9, v[5:6]
	v_mul_lo_u32 v8, s28, v8
	v_mul_lo_u32 v12, s29, v9
	v_mad_u64_u32 v[1:2], s[0:1], s28, v9, v[1:2]
	s_add_u32 s26, s26, 1
	s_addc_u32 s27, s27, 0
	s_add_u32 s6, s6, 8
	v_add3_u32 v2, v12, v2, v8
	s_addc_u32 s7, s7, 0
	v_mov_b32_e32 v8, s14
	s_add_u32 s22, s22, 8
	v_mov_b32_e32 v9, s15
	s_addc_u32 s23, s23, 0
	v_cmp_ge_u64_e32 vcc, s[26:27], v[8:9]
	s_add_u32 s24, s24, 8
	v_add3_u32 v6, v11, v6, v10
	s_addc_u32 s25, s25, 0
	s_cbranch_vccnz .LBB0_9
; %bb.7:                                ;   in Loop: Header=BB0_2 Depth=1
	v_mov_b32_e32 v10, v4
	v_mov_b32_e32 v9, v3
	s_branch .LBB0_2
.LBB0_8:
	v_mov_b32_e32 v1, v5
	v_mov_b32_e32 v3, v9
	;; [unrolled: 1-line block ×4, first 2 shown]
.LBB0_9:
	s_load_dwordx2 s[0:1], s[4:5], 0x28
	s_lshl_b64 s[14:15], s[14:15], 3
	s_add_u32 s4, s18, s14
	s_addc_u32 s5, s19, s15
                                        ; implicit-def: $sgpr18
                                        ; implicit-def: $sgpr19
                                        ; implicit-def: $vgpr45
                                        ; implicit-def: $vgpr49
                                        ; implicit-def: $vgpr46
                                        ; implicit-def: $vgpr47
                                        ; implicit-def: $vgpr48
	s_waitcnt lgkmcnt(0)
	v_cmp_gt_u64_e32 vcc, s[0:1], v[3:4]
	v_cmp_le_u64_e64 s[0:1], s[0:1], v[3:4]
	s_and_saveexec_b64 s[6:7], s[0:1]
	s_xor_b64 s[0:1], exec, s[6:7]
; %bb.10:
	s_mov_b32 s6, 0x253c826
	v_mul_hi_u32 v5, v0, s6
	s_mov_b32 s19, 0
	s_mov_b32 s18, 0
	v_mul_u32_u24_e32 v5, 0x6e, v5
	v_sub_u32_e32 v45, v0, v5
	v_add_u32_e32 v49, 0x6e, v45
	v_add_u32_e32 v46, 0xdc, v45
	v_add_u32_e32 v47, 0x14a, v45
	v_add_u32_e32 v48, 0x1b8, v45
                                        ; implicit-def: $vgpr0
                                        ; implicit-def: $vgpr5_vgpr6
; %bb.11:
	s_or_saveexec_b64 s[6:7], s[0:1]
	s_load_dwordx2 s[4:5], s[4:5], 0x0
	v_mov_b32_e32 v41, s19
	v_mov_b32_e32 v44, s18
	;; [unrolled: 1-line block ×3, first 2 shown]
                                        ; implicit-def: $vgpr7
                                        ; implicit-def: $vgpr23
                                        ; implicit-def: $vgpr25
                                        ; implicit-def: $vgpr27
                                        ; implicit-def: $vgpr29
                                        ; implicit-def: $vgpr31
                                        ; implicit-def: $vgpr33
                                        ; implicit-def: $vgpr35
                                        ; implicit-def: $vgpr43
                                        ; implicit-def: $vgpr39
                                        ; implicit-def: $vgpr37
	s_xor_b64 exec, exec, s[6:7]
	s_cbranch_execz .LBB0_15
; %bb.12:
	s_add_u32 s0, s16, s14
	s_mov_b32 s14, 0x253c826
	v_mul_hi_u32 v7, v0, s14
	s_addc_u32 s1, s17, s15
	s_load_dwordx2 s[0:1], s[0:1], 0x0
	v_lshlrev_b64 v[5:6], 3, v[5:6]
	v_mul_u32_u24_e32 v7, 0x6e, v7
	v_sub_u32_e32 v45, v0, v7
	v_mad_u64_u32 v[7:8], s[14:15], s2, v45, 0
	s_waitcnt lgkmcnt(0)
	v_mul_lo_u32 v13, s1, v3
	v_mul_lo_u32 v14, s0, v4
	v_mad_u64_u32 v[9:10], s[0:1], s0, v3, 0
	v_mov_b32_e32 v0, v8
	v_mad_u64_u32 v[11:12], s[0:1], s3, v45, v[0:1]
	v_add3_u32 v10, v10, v14, v13
	v_lshlrev_b64 v[9:10], 3, v[9:10]
	v_mov_b32_e32 v8, v11
	v_mov_b32_e32 v0, s9
	v_add_co_u32_e64 v11, s[0:1], s8, v9
	v_add_u32_e32 v13, 0x25d, v45
	v_addc_co_u32_e64 v12, s[0:1], v0, v10, s[0:1]
	v_mad_u64_u32 v[9:10], s[0:1], s2, v13, 0
	v_add_co_u32_e64 v0, s[0:1], v11, v5
	v_addc_co_u32_e64 v5, s[0:1], v12, v6, s[0:1]
	v_lshlrev_b64 v[6:7], 3, v[7:8]
	v_mov_b32_e32 v8, v10
	v_mad_u64_u32 v[10:11], s[0:1], s3, v13, v[8:9]
	v_add_u32_e32 v49, 0x6e, v45
	v_mad_u64_u32 v[11:12], s[0:1], s2, v49, 0
	v_add_co_u32_e64 v13, s[0:1], v0, v6
	v_mov_b32_e32 v8, v12
	v_addc_co_u32_e64 v14, s[0:1], v5, v7, s[0:1]
	v_lshlrev_b64 v[6:7], 3, v[9:10]
	v_mad_u64_u32 v[8:9], s[0:1], s3, v49, v[8:9]
	v_add_u32_e32 v17, 0x2cb, v45
	v_mad_u64_u32 v[9:10], s[0:1], s2, v17, 0
	v_add_co_u32_e64 v15, s[0:1], v0, v6
	v_mov_b32_e32 v12, v8
	v_mov_b32_e32 v8, v10
	v_addc_co_u32_e64 v16, s[0:1], v5, v7, s[0:1]
	v_lshlrev_b64 v[6:7], 3, v[11:12]
	v_mad_u64_u32 v[10:11], s[0:1], s3, v17, v[8:9]
	v_add_u32_e32 v46, 0xdc, v45
	v_mad_u64_u32 v[11:12], s[0:1], s2, v46, 0
	v_add_co_u32_e64 v17, s[0:1], v0, v6
	v_mov_b32_e32 v8, v12
	v_addc_co_u32_e64 v18, s[0:1], v5, v7, s[0:1]
	v_lshlrev_b64 v[6:7], 3, v[9:10]
	v_mad_u64_u32 v[8:9], s[0:1], s3, v46, v[8:9]
	v_add_u32_e32 v21, 0x339, v45
	v_mad_u64_u32 v[9:10], s[0:1], s2, v21, 0
	v_add_co_u32_e64 v19, s[0:1], v0, v6
	v_mov_b32_e32 v12, v8
	v_mov_b32_e32 v8, v10
	v_addc_co_u32_e64 v20, s[0:1], v5, v7, s[0:1]
	v_lshlrev_b64 v[6:7], 3, v[11:12]
	;; [unrolled: 15-line block ×4, first 2 shown]
	v_mad_u64_u32 v[10:11], s[0:1], s3, v21, v[8:9]
	v_add_co_u32_e64 v11, s[0:1], v0, v6
	v_addc_co_u32_e64 v12, s[0:1], v5, v7, s[0:1]
	v_lshlrev_b64 v[6:7], 3, v[9:10]
	v_add_co_u32_e64 v8, s[0:1], v0, v6
	v_addc_co_u32_e64 v9, s[0:1], v5, v7, s[0:1]
	global_load_dwordx2 v[6:7], v[13:14], off
	global_load_dwordx2 v[22:23], v[15:16], off
	;; [unrolled: 1-line block ×10, first 2 shown]
	v_cmp_gt_u32_e64 s[0:1], 55, v45
	v_mov_b32_e32 v40, 0
	v_mov_b32_e32 v41, 0
                                        ; implicit-def: $vgpr42
	s_and_saveexec_b64 s[8:9], s[0:1]
	s_cbranch_execz .LBB0_14
; %bb.13:
	v_add_u32_e32 v12, 0x226, v45
	v_add_u32_e32 v14, 0x483, v45
	v_mad_u64_u32 v[8:9], s[0:1], s2, v12, 0
	v_mad_u64_u32 v[10:11], s[0:1], s2, v14, 0
	;; [unrolled: 1-line block ×3, first 2 shown]
	v_mov_b32_e32 v9, v12
	v_mad_u64_u32 v[11:12], s[0:1], s3, v14, v[11:12]
	v_lshlrev_b64 v[8:9], 3, v[8:9]
	v_add_co_u32_e64 v8, s[0:1], v0, v8
	v_lshlrev_b64 v[10:11], 3, v[10:11]
	v_addc_co_u32_e64 v9, s[0:1], v5, v9, s[0:1]
	v_add_co_u32_e64 v10, s[0:1], v0, v10
	v_addc_co_u32_e64 v11, s[0:1], v5, v11, s[0:1]
	global_load_dwordx2 v[40:41], v[8:9], off
	global_load_dwordx2 v[42:43], v[10:11], off
.LBB0_14:
	s_or_b64 exec, exec, s[8:9]
	v_mov_b32_e32 v44, v45
.LBB0_15:
	s_or_b64 exec, exec, s[6:7]
	s_waitcnt vmcnt(8)
	v_sub_f32_e32 v10, v6, v22
	v_fma_f32 v9, v6, 2.0, -v10
	s_waitcnt vmcnt(6)
	v_sub_f32_e32 v6, v24, v26
	s_waitcnt vmcnt(4)
	v_sub_f32_e32 v12, v28, v30
	v_fma_f32 v5, v24, 2.0, -v6
	v_fma_f32 v11, v28, 2.0, -v12
	v_lshl_add_u32 v8, v45, 3, 0
	v_lshl_add_u32 v28, v49, 3, 0
	ds_write_b64 v8, v[9:10]
	ds_write_b64 v28, v[5:6]
	s_waitcnt vmcnt(2)
	v_sub_f32_e32 v6, v32, v36
	v_fma_f32 v5, v32, 2.0, -v6
	v_lshl_add_u32 v50, v46, 3, 0
	v_lshl_add_u32 v24, v47, 3, 0
	ds_write_b64 v50, v[11:12]
	ds_write_b64 v24, v[5:6]
	s_waitcnt vmcnt(0)
	v_sub_f32_e32 v6, v34, v38
	v_sub_f32_e32 v10, v40, v42
	v_add_u32_e32 v0, 0x226, v45
	v_fma_f32 v5, v34, 2.0, -v6
	v_lshl_add_u32 v26, v48, 3, 0
	v_fma_f32 v9, v40, 2.0, -v10
	v_cmp_gt_u32_e64 s[2:3], 55, v45
	v_lshl_add_u32 v30, v0, 3, 0
	ds_write_b64 v26, v[5:6]
	s_and_saveexec_b64 s[0:1], s[2:3]
	s_cbranch_execz .LBB0_17
; %bb.16:
	ds_write_b64 v30, v[9:10]
.LBB0_17:
	s_or_b64 exec, exec, s[0:1]
	v_lshlrev_b32_e32 v0, 2, v45
	v_sub_u32_e32 v6, v8, v0
	v_add_u32_e32 v5, 0x400, v6
	s_waitcnt lgkmcnt(0)
	s_barrier
	ds_read2_b32 v[17:18], v5 offset0:96 offset1:228
	v_add_u32_e32 v5, 0x800, v6
	ds_read2_b32 v[15:16], v5 offset0:82 offset1:214
	v_add_u32_e32 v5, 0xc00, v6
	ds_read2_b32 v[13:14], v5 offset0:68 offset1:200
	v_lshlrev_b32_e32 v5, 2, v49
	v_sub_u32_e32 v19, v28, v5
	ds_read2_b32 v[11:12], v6 offset1:242
	ds_read_b32 v34, v19
	ds_read_b32 v36, v6 offset:4312
	v_sub_u32_e32 v0, 0, v0
	v_cmp_gt_u32_e64 s[0:1], 22, v45
	v_add_u32_e32 v0, v8, v0
	v_lshlrev_b32_e32 v38, 2, v46
                                        ; implicit-def: $vgpr20
                                        ; implicit-def: $vgpr22
	s_and_saveexec_b64 s[6:7], s[0:1]
	s_cbranch_execz .LBB0_19
; %bb.18:
	v_sub_u32_e32 v6, v50, v38
	ds_read_b32 v9, v6
	v_add_u32_e32 v6, 0x720, v0
	ds_read2_b32 v[21:22], v6 offset0:6 offset1:248
	v_add_u32_e32 v6, 0xec0, v0
	ds_read2_b32 v[19:20], v6 offset0:2 offset1:244
	s_waitcnt lgkmcnt(1)
	v_mov_b32_e32 v10, v21
.LBB0_19:
	s_or_b64 exec, exec, s[6:7]
	v_sub_f32_e32 v52, v7, v23
	v_sub_f32_e32 v6, v41, v43
	v_sub_u32_e32 v21, 0, v5
	v_fma_f32 v51, v7, 2.0, -v52
	v_sub_f32_e32 v54, v25, v27
	v_sub_f32_e32 v32, v29, v31
	;; [unrolled: 1-line block ×4, first 2 shown]
	v_fma_f32 v5, v41, 2.0, -v6
	v_fma_f32 v53, v25, 2.0, -v54
	;; [unrolled: 1-line block ×5, first 2 shown]
	s_waitcnt lgkmcnt(0)
	s_barrier
	ds_write_b64 v8, v[51:52]
	ds_write_b64 v28, v[53:54]
	;; [unrolled: 1-line block ×5, first 2 shown]
	s_and_saveexec_b64 s[6:7], s[2:3]
	s_cbranch_execz .LBB0_21
; %bb.20:
	ds_write_b64 v30, v[5:6]
.LBB0_21:
	s_or_b64 exec, exec, s[6:7]
	v_add_u32_e32 v23, 0x400, v0
	s_waitcnt lgkmcnt(0)
	s_barrier
	ds_read2_b32 v[29:30], v23 offset0:96 offset1:228
	v_add_u32_e32 v23, 0x800, v0
	ds_read2_b32 v[25:26], v23 offset0:82 offset1:214
	v_add_u32_e32 v23, 0xc00, v0
	v_add_u32_e32 v21, v28, v21
	ds_read2_b32 v[7:8], v0 offset1:242
	ds_read2_b32 v[23:24], v23 offset0:68 offset1:200
	ds_read_b32 v33, v21
	ds_read_b32 v40, v0 offset:4312
                                        ; implicit-def: $vgpr28
                                        ; implicit-def: $vgpr32
	s_and_saveexec_b64 s[2:3], s[0:1]
	s_cbranch_execz .LBB0_23
; %bb.22:
	v_add_u32_e32 v6, 0x720, v0
	v_sub_u32_e32 v5, v50, v38
	ds_read2_b32 v[31:32], v6 offset0:6 offset1:248
	v_add_u32_e32 v6, 0xec0, v0
	ds_read_b32 v5, v5
	ds_read2_b32 v[27:28], v6 offset0:2 offset1:244
	s_waitcnt lgkmcnt(2)
	v_mov_b32_e32 v6, v31
.LBB0_23:
	s_or_b64 exec, exec, s[2:3]
	v_and_b32_e32 v31, 1, v45
	v_lshlrev_b32_e32 v35, 5, v31
	global_load_dwordx4 v[56:59], v35, s[12:13]
	global_load_dwordx4 v[60:63], v35, s[12:13] offset:16
	v_lshrrev_b32_e32 v35, 1, v45
	v_mul_u32_u24_e32 v64, 10, v35
	s_waitcnt vmcnt(0) lgkmcnt(0)
	s_barrier
	v_mul_f32_e32 v52, v8, v57
	v_mul_f32_e32 v51, v30, v59
	;; [unrolled: 1-line block ×9, first 2 shown]
	v_fmac_f32_e32 v51, v18, v58
	v_fmac_f32_e32 v52, v12, v56
	v_fmac_f32_e32 v54, v16, v60
	v_fmac_f32_e32 v55, v14, v62
	v_mul_f32_e32 v53, v18, v59
	v_mul_f32_e32 v41, v29, v57
	;; [unrolled: 1-line block ×11, first 2 shown]
	v_fmac_f32_e32 v38, v19, v60
	v_fma_f32 v19, v27, v60, -v61
	v_add_f32_e32 v16, v51, v54
	v_add_f32_e32 v27, v52, v55
	v_mul_f32_e32 v37, v6, v57
	v_mul_f32_e32 v57, v10, v57
	v_fmac_f32_e32 v41, v17, v56
	v_fma_f32 v53, v30, v58, -v53
	v_fma_f32 v17, v29, v56, -v65
	v_fma_f32 v12, v8, v56, -v66
	v_fmac_f32_e32 v42, v15, v58
	v_fma_f32 v8, v25, v58, -v59
	v_fma_f32 v15, v26, v60, -v68
	v_fmac_f32_e32 v43, v13, v60
	v_fma_f32 v13, v24, v62, -v69
	v_fmac_f32_e32 v39, v20, v62
	v_fma_f32 v20, v28, v62, -v71
	v_add_f32_e32 v14, v11, v52
	v_sub_f32_e32 v25, v52, v51
	v_sub_f32_e32 v26, v55, v54
	;; [unrolled: 1-line block ×4, first 2 shown]
	v_fma_f32 v16, -0.5, v16, v11
	v_fmac_f32_e32 v11, -0.5, v27
	v_fmac_f32_e32 v35, v22, v58
	v_fma_f32 v22, v6, v56, -v57
	v_fma_f32 v6, v23, v60, -v70
	v_sub_f32_e32 v23, v12, v13
	v_sub_f32_e32 v24, v53, v15
	v_add_f32_e32 v25, v25, v26
	v_add_f32_e32 v26, v28, v29
	v_mov_b32_e32 v28, v16
	v_mov_b32_e32 v29, v11
	v_add_f32_e32 v14, v14, v51
	v_fmac_f32_e32 v11, 0xbf737871, v24
	v_fmac_f32_e32 v28, 0xbf737871, v23
	;; [unrolled: 1-line block ×3, first 2 shown]
	v_mul_f32_e32 v50, v40, v63
	v_add_f32_e32 v30, v42, v43
	v_fmac_f32_e32 v16, 0x3f737871, v23
	v_add_f32_e32 v14, v14, v54
	v_fmac_f32_e32 v11, 0x3f167918, v23
	v_fmac_f32_e32 v28, 0xbf167918, v24
	;; [unrolled: 1-line block ×3, first 2 shown]
	v_or_b32_e32 v23, v64, v31
	v_mul_f32_e32 v63, v36, v63
	v_fmac_f32_e32 v50, v36, v62
	v_fma_f32 v27, -0.5, v30, v34
	v_add_f32_e32 v14, v14, v55
	v_fmac_f32_e32 v28, 0x3e9e377a, v25
	v_lshl_add_u32 v30, v23, 2, 0
	v_fmac_f32_e32 v37, v10, v56
	v_fma_f32 v10, v40, v62, -v63
	ds_write2_b32 v30, v14, v28 offset1:2
	v_sub_f32_e32 v14, v41, v42
	v_sub_f32_e32 v23, v50, v43
	v_fma_f32 v18, v32, v58, -v67
	v_sub_f32_e32 v32, v17, v10
	v_add_f32_e32 v14, v14, v23
	v_mov_b32_e32 v23, v27
	v_fmac_f32_e32 v16, 0x3f167918, v24
	v_fmac_f32_e32 v23, 0xbf737871, v32
	v_sub_f32_e32 v24, v8, v6
	v_fmac_f32_e32 v27, 0x3f737871, v32
	v_fmac_f32_e32 v16, 0x3e9e377a, v25
	;; [unrolled: 1-line block ×4, first 2 shown]
	v_add_f32_e32 v25, v41, v50
	v_fmac_f32_e32 v11, 0x3e9e377a, v26
	v_fmac_f32_e32 v29, 0x3e9e377a, v26
	v_fmac_f32_e32 v23, 0x3e9e377a, v14
	v_fmac_f32_e32 v27, 0x3e9e377a, v14
	v_add_f32_e32 v14, v34, v41
	v_fmac_f32_e32 v34, -0.5, v25
	v_sub_f32_e32 v25, v42, v41
	v_sub_f32_e32 v26, v43, v50
	v_add_f32_e32 v25, v25, v26
	v_mov_b32_e32 v26, v34
	v_fmac_f32_e32 v26, 0x3f737871, v24
	v_fmac_f32_e32 v34, 0xbf737871, v24
	v_lshrrev_b32_e32 v24, 1, v49
	v_mul_lo_u32 v24, v24, 10
	v_add_f32_e32 v14, v14, v42
	v_add_f32_e32 v14, v14, v43
	ds_write2_b32 v30, v29, v11 offset0:4 offset1:6
	ds_write_b32 v30, v16 offset:32
	v_or_b32_e32 v11, v24, v31
	v_fmac_f32_e32 v26, 0xbf167918, v32
	v_fmac_f32_e32 v34, 0x3f167918, v32
	v_add_f32_e32 v14, v14, v50
	v_lshl_add_u32 v32, v11, 2, 0
	v_fmac_f32_e32 v26, 0x3e9e377a, v25
	v_fmac_f32_e32 v34, 0x3e9e377a, v25
	ds_write2_b32 v32, v14, v23 offset1:2
	ds_write2_b32 v32, v26, v34 offset0:4 offset1:6
	ds_write_b32 v32, v27 offset:32
	v_lshrrev_b32_e32 v27, 1, v46
	s_and_saveexec_b64 s[2:3], s[0:1]
	s_cbranch_execz .LBB0_25
; %bb.24:
	v_add_f32_e32 v16, v37, v39
	v_fma_f32 v16, -0.5, v16, v9
	v_sub_f32_e32 v11, v35, v37
	v_sub_f32_e32 v14, v38, v39
	;; [unrolled: 1-line block ×3, first 2 shown]
	v_mov_b32_e32 v24, v16
	v_add_f32_e32 v11, v11, v14
	v_sub_f32_e32 v14, v22, v20
	v_fmac_f32_e32 v24, 0xbf737871, v23
	v_fmac_f32_e32 v16, 0x3f737871, v23
	;; [unrolled: 1-line block ×6, first 2 shown]
	v_sub_f32_e32 v11, v37, v35
	v_sub_f32_e32 v25, v39, v38
	v_add_f32_e32 v11, v11, v25
	v_add_f32_e32 v25, v35, v38
	v_fma_f32 v25, -0.5, v25, v9
	v_mov_b32_e32 v26, v25
	v_fmac_f32_e32 v26, 0x3f737871, v14
	v_fmac_f32_e32 v25, 0xbf737871, v14
	;; [unrolled: 1-line block ×6, first 2 shown]
	v_mul_lo_u32 v11, v27, 10
	v_add_f32_e32 v9, v9, v37
	v_add_f32_e32 v9, v9, v35
	;; [unrolled: 1-line block ×3, first 2 shown]
	v_or_b32_e32 v11, v11, v31
	v_add_f32_e32 v9, v9, v39
	v_lshl_add_u32 v11, v11, 2, 0
	ds_write2_b32 v11, v9, v25 offset1:2
	ds_write2_b32 v11, v16, v24 offset0:4 offset1:6
	ds_write_b32 v11, v26 offset:32
.LBB0_25:
	s_or_b64 exec, exec, s[2:3]
	v_add_f32_e32 v9, v7, v12
	v_add_f32_e32 v9, v9, v53
	;; [unrolled: 1-line block ×5, first 2 shown]
	v_fma_f32 v36, -0.5, v9, v7
	v_sub_f32_e32 v9, v52, v55
	v_mov_b32_e32 v40, v36
	v_fmac_f32_e32 v40, 0x3f737871, v9
	v_sub_f32_e32 v11, v51, v54
	v_sub_f32_e32 v14, v12, v53
	;; [unrolled: 1-line block ×3, first 2 shown]
	v_fmac_f32_e32 v36, 0xbf737871, v9
	v_fmac_f32_e32 v40, 0x3f167918, v11
	v_add_f32_e32 v14, v14, v16
	v_fmac_f32_e32 v36, 0xbf167918, v11
	v_fmac_f32_e32 v40, 0x3e9e377a, v14
	;; [unrolled: 1-line block ×3, first 2 shown]
	v_add_f32_e32 v14, v12, v13
	v_fmac_f32_e32 v7, -0.5, v14
	v_mov_b32_e32 v49, v7
	v_fmac_f32_e32 v49, 0xbf737871, v11
	v_fmac_f32_e32 v7, 0x3f737871, v11
	;; [unrolled: 1-line block ×4, first 2 shown]
	v_add_f32_e32 v9, v33, v17
	v_add_f32_e32 v9, v9, v8
	v_add_f32_e32 v9, v9, v6
	v_add_f32_e32 v51, v9, v10
	v_add_f32_e32 v9, v8, v6
	v_sub_f32_e32 v12, v53, v12
	v_sub_f32_e32 v13, v15, v13
	v_fma_f32 v52, -0.5, v9, v33
	v_add_f32_e32 v12, v12, v13
	v_sub_f32_e32 v9, v41, v50
	v_mov_b32_e32 v41, v52
	v_fmac_f32_e32 v49, 0x3e9e377a, v12
	v_fmac_f32_e32 v7, 0x3e9e377a, v12
	;; [unrolled: 1-line block ×3, first 2 shown]
	v_sub_f32_e32 v11, v42, v43
	v_sub_f32_e32 v12, v17, v8
	;; [unrolled: 1-line block ×3, first 2 shown]
	v_fmac_f32_e32 v52, 0xbf737871, v9
	v_fmac_f32_e32 v41, 0x3f167918, v11
	v_add_f32_e32 v12, v12, v13
	v_fmac_f32_e32 v52, 0xbf167918, v11
	v_fmac_f32_e32 v41, 0x3e9e377a, v12
	;; [unrolled: 1-line block ×3, first 2 shown]
	v_add_f32_e32 v12, v17, v10
	v_fmac_f32_e32 v33, -0.5, v12
	v_mov_b32_e32 v42, v33
	v_fmac_f32_e32 v42, 0xbf737871, v11
	v_sub_f32_e32 v8, v8, v17
	v_sub_f32_e32 v6, v6, v10
	v_fmac_f32_e32 v33, 0x3f737871, v11
	v_lshl_add_u32 v15, v46, 2, 0
	v_fmac_f32_e32 v42, 0x3f167918, v9
	v_add_f32_e32 v6, v8, v6
	v_fmac_f32_e32 v33, 0xbf167918, v9
	s_waitcnt lgkmcnt(0)
	s_barrier
	v_lshl_add_u32 v14, v47, 2, 0
	v_lshl_add_u32 v13, v48, 2, 0
	ds_read_b32 v26, v15
	ds_read_b32 v25, v14
	;; [unrolled: 1-line block ×3, first 2 shown]
	v_lshl_add_u32 v12, v45, 2, 0
	ds_read_b32 v23, v0 offset:4400
	ds_read_b32 v17, v0
	ds_read_b32 v29, v21
	ds_read_b32 v28, v12 offset:2200
	v_fmac_f32_e32 v42, 0x3e9e377a, v6
	v_fmac_f32_e32 v33, 0x3e9e377a, v6
	v_add_u32_e32 v6, 0xa00, v0
	v_add_u32_e32 v16, 0xc00, v0
	ds_read2_b32 v[10:11], v6 offset0:20 offset1:130
	ds_read2_b32 v[8:9], v16 offset0:112 offset1:222
	s_waitcnt lgkmcnt(0)
	s_barrier
	ds_write2_b32 v30, v34, v40 offset1:2
	ds_write2_b32 v30, v49, v7 offset0:4 offset1:6
	ds_write_b32 v30, v36 offset:32
	ds_write2_b32 v32, v51, v41 offset1:2
	ds_write2_b32 v32, v42, v33 offset0:4 offset1:6
	ds_write_b32 v32, v52 offset:32
	s_and_saveexec_b64 s[2:3], s[0:1]
	s_cbranch_execz .LBB0_27
; %bb.26:
	v_add_f32_e32 v30, v18, v19
	v_fma_f32 v30, -0.5, v30, v5
	v_sub_f32_e32 v32, v37, v39
	v_mov_b32_e32 v33, v30
	v_add_f32_e32 v7, v5, v22
	v_fmac_f32_e32 v33, 0x3f737871, v32
	v_sub_f32_e32 v34, v35, v38
	v_sub_f32_e32 v35, v22, v18
	;; [unrolled: 1-line block ×3, first 2 shown]
	v_fmac_f32_e32 v30, 0xbf737871, v32
	v_add_f32_e32 v7, v7, v18
	v_fmac_f32_e32 v33, 0x3f167918, v34
	v_add_f32_e32 v35, v35, v36
	;; [unrolled: 2-line block ×3, first 2 shown]
	v_fmac_f32_e32 v33, 0x3e9e377a, v35
	v_fmac_f32_e32 v30, 0x3e9e377a, v35
	v_add_f32_e32 v35, v22, v20
	v_sub_f32_e32 v18, v18, v22
	v_sub_f32_e32 v19, v19, v20
	v_fmac_f32_e32 v5, -0.5, v35
	v_add_f32_e32 v18, v18, v19
	v_mul_lo_u32 v19, v27, 10
	v_mov_b32_e32 v35, v5
	v_fmac_f32_e32 v35, 0xbf737871, v34
	v_fmac_f32_e32 v5, 0x3f737871, v34
	;; [unrolled: 1-line block ×6, first 2 shown]
	v_or_b32_e32 v18, v19, v31
	v_add_f32_e32 v7, v7, v20
	v_lshl_add_u32 v18, v18, 2, 0
	ds_write2_b32 v18, v7, v33 offset1:2
	ds_write2_b32 v18, v35, v5 offset0:4 offset1:6
	ds_write_b32 v18, v30 offset:32
.LBB0_27:
	s_or_b64 exec, exec, s[2:3]
	s_movk_i32 s0, 0xcd
	v_mul_lo_u16_sdwa v5, v45, s0 dst_sel:DWORD dst_unused:UNUSED_PAD src0_sel:BYTE_0 src1_sel:DWORD
	v_lshrrev_b16_e32 v5, 11, v5
	v_mul_lo_u16_e32 v7, 10, v5
	v_sub_u16_e32 v7, v45, v7
	v_mov_b32_e32 v18, 10
	v_mul_u32_u24_sdwa v18, v7, v18 dst_sel:DWORD dst_unused:UNUSED_PAD src0_sel:BYTE_0 src1_sel:DWORD
	v_lshlrev_b32_e32 v18, 3, v18
	s_waitcnt lgkmcnt(0)
	s_barrier
	global_load_dwordx4 v[30:33], v18, s[12:13] offset:64
	global_load_dwordx4 v[34:37], v18, s[12:13] offset:80
	;; [unrolled: 1-line block ×5, first 2 shown]
	ds_read_b32 v20, v15
	ds_read_b32 v22, v14
	;; [unrolled: 1-line block ×4, first 2 shown]
	ds_read_b32 v55, v12 offset:2200
	ds_read2_b32 v[18:19], v6 offset0:20 offset1:130
	ds_read2_b32 v[42:43], v16 offset0:112 offset1:222
	ds_read_b32 v56, v0
	ds_read_b32 v57, v0 offset:4400
	s_mov_b32 s0, 0x3f575c64
	s_mov_b32 s1, 0x3ed4b147
	;; [unrolled: 1-line block ×5, first 2 shown]
	v_mul_u32_u24_e32 v5, 0x1b8, v5
	s_waitcnt vmcnt(0) lgkmcnt(0)
	s_barrier
	v_mul_f32_e32 v58, v54, v31
	v_mul_f32_e32 v31, v29, v31
	;; [unrolled: 1-line block ×5, first 2 shown]
	v_fmac_f32_e32 v58, v29, v30
	v_fma_f32 v29, v54, v30, -v31
	v_mul_f32_e32 v60, v22, v35
	v_mul_f32_e32 v35, v25, v35
	;; [unrolled: 1-line block ×3, first 2 shown]
	v_fma_f32 v20, v20, v32, -v33
	v_fmac_f32_e32 v67, v23, v52
	v_add_f32_e32 v23, v56, v29
	v_mul_f32_e32 v61, v27, v37
	v_mul_f32_e32 v37, v24, v37
	v_fma_f32 v22, v22, v34, -v35
	v_add_f32_e32 v23, v23, v20
	v_mul_f32_e32 v62, v55, v39
	v_mul_f32_e32 v39, v28, v39
	v_fmac_f32_e32 v61, v24, v36
	v_fma_f32 v24, v27, v36, -v37
	v_add_f32_e32 v23, v23, v22
	v_mul_f32_e32 v63, v18, v41
	v_mul_f32_e32 v41, v10, v41
	v_fmac_f32_e32 v60, v25, v34
	;; [unrolled: 5-line block ×4, first 2 shown]
	v_fma_f32 v11, v19, v46, -v47
	v_fma_f32 v18, v57, v52, -v53
	v_add_f32_e32 v23, v23, v10
	v_mul_f32_e32 v66, v43, v51
	v_mul_f32_e32 v51, v9, v51
	v_fmac_f32_e32 v65, v8, v48
	v_fma_f32 v8, v42, v48, -v49
	v_add_f32_e32 v27, v29, v18
	v_sub_f32_e32 v29, v29, v18
	v_add_f32_e32 v23, v23, v11
	v_fmac_f32_e32 v59, v26, v32
	v_fmac_f32_e32 v62, v28, v38
	;; [unrolled: 1-line block ×3, first 2 shown]
	v_fma_f32 v9, v43, v50, -v51
	v_add_f32_e32 v26, v58, v67
	v_sub_f32_e32 v28, v58, v67
	v_mul_f32_e32 v30, 0xbf0a6770, v29
	v_mul_f32_e32 v31, 0x3f575c64, v27
	v_add_f32_e32 v23, v23, v8
	v_mov_b32_e32 v32, v30
	v_mov_b32_e32 v33, v31
	v_fma_f32 v30, v26, s0, -v30
	v_add_f32_e32 v23, v23, v9
	v_fmac_f32_e32 v31, 0xbf0a6770, v28
	v_mul_f32_e32 v35, 0x3ed4b147, v27
	v_mul_f32_e32 v39, 0xbe11bafb, v27
	;; [unrolled: 1-line block ×4, first 2 shown]
	v_add_f32_e32 v23, v23, v18
	v_add_f32_e32 v18, v17, v30
	;; [unrolled: 1-line block ×3, first 2 shown]
	v_mul_f32_e32 v31, 0xbf68dda4, v29
	v_mov_b32_e32 v36, v35
	v_mul_f32_e32 v37, 0xbf7d64f0, v29
	v_mov_b32_e32 v40, v39
	;; [unrolled: 2-line block ×4, first 2 shown]
	v_fmac_f32_e32 v33, 0x3f0a6770, v28
	v_mov_b32_e32 v34, v31
	v_fmac_f32_e32 v36, 0x3f68dda4, v28
	v_fmac_f32_e32 v35, 0xbf68dda4, v28
	v_mov_b32_e32 v38, v37
	v_fmac_f32_e32 v40, 0x3f7d64f0, v28
	;; [unrolled: 3-line block ×4, first 2 shown]
	v_fmac_f32_e32 v27, 0xbe903f40, v28
	v_add_f32_e32 v28, v20, v9
	v_sub_f32_e32 v9, v20, v9
	v_fmac_f32_e32 v32, 0x3f575c64, v26
	v_fmac_f32_e32 v34, 0x3ed4b147, v26
	v_fma_f32 v31, v26, s1, -v31
	v_fmac_f32_e32 v38, 0xbe11bafb, v26
	v_fma_f32 v37, v26, s2, -v37
	;; [unrolled: 2-line block ×4, first 2 shown]
	v_mul_f32_e32 v20, 0xbf68dda4, v9
	v_add_f32_e32 v19, v17, v58
	v_add_f32_e32 v32, v17, v32
	;; [unrolled: 1-line block ×12, first 2 shown]
	v_mov_b32_e32 v49, v20
	v_fmac_f32_e32 v49, 0x3ed4b147, v27
	v_sub_f32_e32 v29, v59, v66
	v_add_f32_e32 v32, v49, v32
	v_mul_f32_e32 v49, 0x3ed4b147, v28
	v_mov_b32_e32 v50, v49
	v_fma_f32 v20, v27, s1, -v20
	v_fmac_f32_e32 v49, 0xbf68dda4, v29
	v_add_f32_e32 v18, v20, v18
	v_add_f32_e32 v20, v49, v30
	v_mul_f32_e32 v30, 0xbf4178ce, v9
	v_mov_b32_e32 v49, v30
	v_fmac_f32_e32 v49, 0xbf27a4f4, v27
	v_add_f32_e32 v33, v56, v33
	v_fmac_f32_e32 v50, 0x3f68dda4, v29
	v_add_f32_e32 v34, v49, v34
	v_mul_f32_e32 v49, 0xbf27a4f4, v28
	v_add_f32_e32 v35, v56, v35
	v_add_f32_e32 v33, v50, v33
	v_mov_b32_e32 v50, v49
	v_fma_f32 v30, v27, s3, -v30
	v_fmac_f32_e32 v49, 0xbf4178ce, v29
	v_add_f32_e32 v30, v30, v31
	v_add_f32_e32 v31, v49, v35
	v_mul_f32_e32 v35, 0x3e903f40, v9
	v_mov_b32_e32 v49, v35
	v_fmac_f32_e32 v49, 0xbf75a155, v27
	v_add_f32_e32 v36, v56, v36
	v_fmac_f32_e32 v50, 0x3f4178ce, v29
	v_add_f32_e32 v38, v49, v38
	v_mul_f32_e32 v49, 0xbf75a155, v28
	v_add_f32_e32 v39, v56, v39
	v_add_f32_e32 v36, v50, v36
	v_mov_b32_e32 v50, v49
	v_fma_f32 v35, v27, s6, -v35
	v_fmac_f32_e32 v49, 0x3e903f40, v29
	v_add_f32_e32 v35, v35, v37
	v_add_f32_e32 v37, v49, v39
	v_mul_f32_e32 v39, 0x3f7d64f0, v9
	v_mov_b32_e32 v49, v39
	v_fmac_f32_e32 v49, 0xbe11bafb, v27
	v_add_f32_e32 v40, v56, v40
	v_fmac_f32_e32 v50, 0xbe903f40, v29
	v_add_f32_e32 v42, v49, v42
	v_mul_f32_e32 v49, 0xbe11bafb, v28
	v_add_f32_e32 v43, v56, v43
	v_add_f32_e32 v40, v50, v40
	v_mov_b32_e32 v50, v49
	v_fma_f32 v39, v27, s2, -v39
	v_fmac_f32_e32 v49, 0x3f7d64f0, v29
	v_mul_f32_e32 v9, 0x3f0a6770, v9
	v_add_f32_e32 v39, v39, v41
	v_add_f32_e32 v41, v49, v43
	v_mov_b32_e32 v43, v9
	v_fmac_f32_e32 v43, 0x3f575c64, v27
	v_mul_f32_e32 v28, 0x3f575c64, v28
	v_fma_f32 v9, v27, s0, -v9
	v_add_f32_e32 v27, v22, v8
	v_sub_f32_e32 v8, v22, v8
	v_add_f32_e32 v43, v43, v47
	v_mov_b32_e32 v47, v28
	v_fmac_f32_e32 v28, 0x3f0a6770, v29
	v_mul_f32_e32 v22, 0xbf7d64f0, v8
	v_fmac_f32_e32 v50, 0xbf7d64f0, v29
	v_fmac_f32_e32 v47, 0xbf0a6770, v29
	v_add_f32_e32 v9, v9, v17
	v_add_f32_e32 v17, v28, v26
	;; [unrolled: 1-line block ×3, first 2 shown]
	v_mov_b32_e32 v29, v22
	v_fmac_f32_e32 v29, 0xbe11bafb, v26
	v_add_f32_e32 v48, v56, v48
	v_sub_f32_e32 v28, v60, v65
	v_add_f32_e32 v29, v29, v32
	v_mul_f32_e32 v32, 0xbe11bafb, v27
	v_fma_f32 v22, v26, s2, -v22
	v_add_f32_e32 v47, v47, v48
	v_mov_b32_e32 v48, v32
	v_add_f32_e32 v18, v22, v18
	v_fmac_f32_e32 v32, 0xbf7d64f0, v28
	v_mul_f32_e32 v22, 0x3e903f40, v8
	v_add_f32_e32 v20, v32, v20
	v_mov_b32_e32 v32, v22
	v_fmac_f32_e32 v32, 0xbf75a155, v26
	v_fmac_f32_e32 v48, 0x3f7d64f0, v28
	v_add_f32_e32 v32, v32, v34
	v_mul_f32_e32 v34, 0xbf75a155, v27
	v_add_f32_e32 v33, v48, v33
	v_mov_b32_e32 v48, v34
	v_fma_f32 v22, v26, s6, -v22
	v_fmac_f32_e32 v34, 0x3e903f40, v28
	v_add_f32_e32 v22, v22, v30
	v_add_f32_e32 v30, v34, v31
	v_mul_f32_e32 v31, 0x3f68dda4, v8
	v_mov_b32_e32 v34, v31
	v_fmac_f32_e32 v34, 0x3ed4b147, v26
	v_fmac_f32_e32 v48, 0xbe903f40, v28
	v_add_f32_e32 v34, v34, v38
	v_mul_f32_e32 v38, 0x3ed4b147, v27
	v_add_f32_e32 v36, v48, v36
	v_mov_b32_e32 v48, v38
	v_fma_f32 v31, v26, s1, -v31
	v_fmac_f32_e32 v38, 0x3f68dda4, v28
	v_add_f32_e32 v31, v31, v35
	v_add_f32_e32 v35, v38, v37
	v_mul_f32_e32 v37, 0xbf0a6770, v8
	v_mov_b32_e32 v38, v37
	v_fmac_f32_e32 v38, 0x3f575c64, v26
	v_fmac_f32_e32 v48, 0xbf68dda4, v28
	v_add_f32_e32 v38, v38, v42
	v_mul_f32_e32 v42, 0x3f575c64, v27
	v_add_f32_e32 v40, v48, v40
	v_mov_b32_e32 v48, v42
	v_fma_f32 v37, v26, s0, -v37
	v_fmac_f32_e32 v42, 0xbf0a6770, v28
	v_mul_f32_e32 v8, 0xbf4178ce, v8
	v_add_f32_e32 v37, v37, v39
	v_add_f32_e32 v39, v42, v41
	v_mov_b32_e32 v41, v8
	v_fmac_f32_e32 v41, 0xbf27a4f4, v26
	v_mul_f32_e32 v27, 0xbf27a4f4, v27
	v_fma_f32 v8, v26, s3, -v8
	v_add_f32_e32 v26, v24, v11
	v_sub_f32_e32 v11, v24, v11
	v_mov_b32_e32 v42, v27
	v_fmac_f32_e32 v27, 0xbf4178ce, v28
	v_mul_f32_e32 v24, 0xbf4178ce, v11
	v_fmac_f32_e32 v48, 0x3f0a6770, v28
	v_fmac_f32_e32 v42, 0x3f4178ce, v28
	v_add_f32_e32 v8, v8, v9
	v_add_f32_e32 v9, v27, v17
	;; [unrolled: 1-line block ×3, first 2 shown]
	v_mov_b32_e32 v28, v24
	v_fmac_f32_e32 v28, 0xbf27a4f4, v17
	v_sub_f32_e32 v27, v61, v64
	v_add_f32_e32 v28, v28, v29
	v_mul_f32_e32 v29, 0xbf27a4f4, v26
	v_fma_f32 v24, v17, s3, -v24
	v_add_f32_e32 v41, v41, v43
	v_mov_b32_e32 v43, v29
	v_add_f32_e32 v18, v24, v18
	v_fmac_f32_e32 v29, 0xbf4178ce, v27
	v_mul_f32_e32 v24, 0x3f7d64f0, v11
	v_add_f32_e32 v20, v29, v20
	v_mov_b32_e32 v29, v24
	v_fmac_f32_e32 v29, 0xbe11bafb, v17
	v_fmac_f32_e32 v43, 0x3f4178ce, v27
	v_add_f32_e32 v29, v29, v32
	v_mul_f32_e32 v32, 0xbe11bafb, v26
	v_add_f32_e32 v33, v43, v33
	v_mov_b32_e32 v43, v32
	v_fma_f32 v24, v17, s2, -v24
	v_fmac_f32_e32 v32, 0x3f7d64f0, v27
	v_add_f32_e32 v22, v24, v22
	v_add_f32_e32 v24, v32, v30
	v_mul_f32_e32 v30, 0xbf0a6770, v11
	v_mov_b32_e32 v32, v30
	v_fmac_f32_e32 v32, 0x3f575c64, v17
	v_fmac_f32_e32 v43, 0xbf7d64f0, v27
	v_add_f32_e32 v32, v32, v34
	v_mul_f32_e32 v34, 0x3f575c64, v26
	v_add_f32_e32 v36, v43, v36
	v_mov_b32_e32 v43, v34
	v_fma_f32 v30, v17, s0, -v30
	v_fmac_f32_e32 v34, 0xbf0a6770, v27
	v_add_f32_e32 v30, v30, v31
	v_add_f32_e32 v31, v34, v35
	v_mul_f32_e32 v34, 0xbe903f40, v11
	v_mov_b32_e32 v35, v34
	v_fmac_f32_e32 v35, 0xbf75a155, v17
	v_fmac_f32_e32 v43, 0x3f0a6770, v27
	v_add_f32_e32 v35, v35, v38
	v_mul_f32_e32 v38, 0xbf75a155, v26
	v_add_f32_e32 v40, v43, v40
	v_mov_b32_e32 v43, v38
	v_fma_f32 v34, v17, s6, -v34
	v_fmac_f32_e32 v38, 0xbe903f40, v27
	v_mul_f32_e32 v11, 0x3f68dda4, v11
	v_add_f32_e32 v34, v34, v37
	v_add_f32_e32 v37, v38, v39
	v_mov_b32_e32 v38, v11
	v_fmac_f32_e32 v38, 0x3ed4b147, v17
	v_mul_f32_e32 v26, 0x3ed4b147, v26
	v_fma_f32 v11, v17, s1, -v11
	v_add_f32_e32 v17, v25, v10
	v_sub_f32_e32 v10, v25, v10
	v_mov_b32_e32 v39, v26
	v_mul_f32_e32 v25, 0xbe903f40, v10
	v_fmac_f32_e32 v43, 0x3e903f40, v27
	v_fmac_f32_e32 v39, 0xbf68dda4, v27
	v_add_f32_e32 v8, v11, v8
	v_fmac_f32_e32 v26, 0x3f68dda4, v27
	v_add_f32_e32 v11, v62, v63
	v_mov_b32_e32 v27, v25
	v_fmac_f32_e32 v27, 0xbf75a155, v11
	v_add_f32_e32 v9, v26, v9
	v_sub_f32_e32 v26, v62, v63
	v_add_f32_e32 v27, v27, v28
	v_mul_f32_e32 v28, 0xbf75a155, v17
	v_add_f32_e32 v38, v38, v41
	v_mov_b32_e32 v41, v28
	v_fma_f32 v25, v11, s6, -v25
	v_fmac_f32_e32 v28, 0xbe903f40, v26
	v_add_f32_e32 v18, v25, v18
	v_add_f32_e32 v25, v28, v20
	v_mul_f32_e32 v20, 0x3f0a6770, v10
	v_mov_b32_e32 v28, v20
	v_fmac_f32_e32 v28, 0x3f575c64, v11
	v_fmac_f32_e32 v41, 0x3e903f40, v26
	v_add_f32_e32 v28, v28, v29
	v_mul_f32_e32 v29, 0x3f575c64, v17
	v_add_f32_e32 v33, v41, v33
	v_mov_b32_e32 v41, v29
	v_fma_f32 v20, v11, s0, -v20
	v_fmac_f32_e32 v29, 0x3f0a6770, v26
	v_add_f32_e32 v20, v20, v22
	v_add_f32_e32 v22, v29, v24
	v_mul_f32_e32 v24, 0xbf4178ce, v10
	v_mov_b32_e32 v29, v24
	v_fmac_f32_e32 v29, 0xbf27a4f4, v11
	v_fmac_f32_e32 v41, 0xbf0a6770, v26
	v_add_f32_e32 v29, v29, v32
	v_mul_f32_e32 v32, 0xbf27a4f4, v17
	v_add_f32_e32 v36, v41, v36
	v_mov_b32_e32 v41, v32
	v_fma_f32 v24, v11, s3, -v24
	v_fmac_f32_e32 v32, 0xbf4178ce, v26
	v_add_f32_e32 v19, v19, v59
	v_add_f32_e32 v24, v24, v30
	;; [unrolled: 1-line block ×3, first 2 shown]
	v_mul_f32_e32 v31, 0x3f68dda4, v10
	v_add_f32_e32 v19, v19, v60
	v_mov_b32_e32 v32, v31
	v_add_f32_e32 v19, v19, v61
	v_fmac_f32_e32 v32, 0x3ed4b147, v11
	v_add_f32_e32 v19, v19, v62
	v_fmac_f32_e32 v41, 0x3f4178ce, v26
	v_add_f32_e32 v32, v32, v35
	v_mul_f32_e32 v35, 0x3ed4b147, v17
	v_add_f32_e32 v19, v19, v63
	v_add_f32_e32 v40, v41, v40
	v_mov_b32_e32 v41, v35
	v_fma_f32 v31, v11, s1, -v31
	v_fmac_f32_e32 v35, 0x3f68dda4, v26
	v_mul_f32_e32 v17, 0xbe11bafb, v17
	v_add_f32_e32 v19, v19, v64
	v_add_f32_e32 v31, v31, v34
	;; [unrolled: 1-line block ×3, first 2 shown]
	v_mul_f32_e32 v10, 0xbf7d64f0, v10
	v_mov_b32_e32 v37, v17
	v_fmac_f32_e32 v17, 0xbf7d64f0, v26
	v_add_f32_e32 v19, v19, v65
	v_fmac_f32_e32 v41, 0xbf68dda4, v26
	v_mov_b32_e32 v35, v10
	v_fmac_f32_e32 v37, 0x3f7d64f0, v26
	v_add_f32_e32 v26, v17, v9
	v_mov_b32_e32 v9, 2
	v_add_f32_e32 v19, v19, v66
	v_fmac_f32_e32 v35, 0xbe11bafb, v11
	v_fma_f32 v10, v11, s2, -v10
	v_lshlrev_b32_sdwa v7, v9, v7 dst_sel:DWORD dst_unused:UNUSED_PAD src0_sel:DWORD src1_sel:BYTE_0
	v_add_f32_e32 v19, v19, v67
	v_add_f32_e32 v35, v35, v38
	;; [unrolled: 1-line block ×3, first 2 shown]
	v_add3_u32 v38, 0, v5, v7
	ds_write2_b32 v38, v19, v27 offset1:10
	ds_write2_b32 v38, v28, v29 offset0:20 offset1:30
	ds_write2_b32 v38, v32, v35 offset0:40 offset1:50
	;; [unrolled: 1-line block ×4, first 2 shown]
	ds_write_b32 v38, v18 offset:400
	s_waitcnt lgkmcnt(0)
	s_barrier
	ds_read_b32 v18, v15
	ds_read_b32 v17, v14
	;; [unrolled: 1-line block ×3, first 2 shown]
	ds_read_b32 v19, v0 offset:4400
	ds_read_b32 v9, v0
	ds_read_b32 v20, v21
	ds_read_b32 v10, v12 offset:2200
	ds_read2_b32 v[5:6], v6 offset0:20 offset1:130
	ds_read2_b32 v[7:8], v16 offset0:112 offset1:222
	v_add_f32_e32 v46, v56, v46
	v_add_f32_e32 v46, v50, v46
	;; [unrolled: 1-line block ×8, first 2 shown]
	s_waitcnt lgkmcnt(0)
	s_barrier
	ds_write2_b32 v38, v23, v33 offset1:10
	ds_write2_b32 v38, v36, v40 offset0:20 offset1:30
	ds_write2_b32 v38, v41, v37 offset0:40 offset1:50
	;; [unrolled: 1-line block ×4, first 2 shown]
	ds_write_b32 v38, v25 offset:400
	s_waitcnt lgkmcnt(0)
	s_barrier
	s_and_saveexec_b64 s[8:9], vcc
	s_cbranch_execz .LBB0_29
; %bb.28:
	v_mul_u32_u24_e32 v16, 10, v45
	v_lshlrev_b32_e32 v16, 3, v16
	global_load_dwordx4 v[22:25], v16, s[12:13] offset:864
	global_load_dwordx4 v[26:29], v16, s[12:13] offset:928
	;; [unrolled: 1-line block ×5, first 2 shown]
	v_mul_lo_u32 v16, s5, v3
	v_mul_lo_u32 v45, s4, v4
	v_mad_u64_u32 v[42:43], s[4:5], s4, v3, 0
	ds_read_b32 v46, v0 offset:4400
	ds_read_b32 v47, v0
	v_add_u32_e32 v3, 0xc00, v0
	ds_read_b32 v15, v15
	ds_read_b32 v14, v14
	;; [unrolled: 1-line block ×3, first 2 shown]
	v_add_u32_e32 v0, 0xa00, v0
	ds_read_b32 v21, v21
	ds_read_b32 v49, v12 offset:2200
	ds_read2_b32 v[3:4], v3 offset0:112 offset1:222
	ds_read2_b32 v[12:13], v0 offset0:20 offset1:130
	v_add3_u32 v43, v43, v45, v16
	s_waitcnt vmcnt(4)
	v_mul_f32_e32 v0, v20, v22
	s_waitcnt vmcnt(3)
	v_mul_f32_e32 v45, v19, v28
	v_mul_f32_e32 v16, v19, v29
	;; [unrolled: 1-line block ×5, first 2 shown]
	s_waitcnt vmcnt(2)
	v_mul_f32_e32 v51, v17, v30
	s_waitcnt lgkmcnt(3)
	v_fmac_f32_e32 v0, v21, v23
	v_fmac_f32_e32 v45, v46, v29
	s_waitcnt vmcnt(1)
	v_mul_f32_e32 v52, v7, v36
	v_mul_f32_e32 v17, v17, v31
	;; [unrolled: 1-line block ×4, first 2 shown]
	s_waitcnt vmcnt(0)
	v_mul_f32_e32 v55, v10, v38
	v_fmac_f32_e32 v20, v15, v25
	s_waitcnt lgkmcnt(1)
	v_fmac_f32_e32 v50, v4, v27
	v_fmac_f32_e32 v51, v14, v31
	v_sub_f32_e32 v31, v0, v45
	v_mul_f32_e32 v8, v8, v27
	v_mul_f32_e32 v18, v18, v25
	;; [unrolled: 1-line block ×7, first 2 shown]
	v_fma_f32 v23, v46, v28, -v16
	v_fma_f32 v21, v21, v22, -v19
	v_fmac_f32_e32 v52, v3, v37
	v_fma_f32 v28, v48, v32, -v11
	v_fmac_f32_e32 v55, v49, v39
	v_sub_f32_e32 v32, v20, v50
	v_mul_f32_e32 v39, 0xbf0a6770, v31
	v_fma_f32 v22, v4, v26, -v8
	v_fma_f32 v24, v15, v24, -v18
	;; [unrolled: 1-line block ×3, first 2 shown]
	v_fmac_f32_e32 v53, v48, v33
	s_waitcnt lgkmcnt(0)
	v_fmac_f32_e32 v54, v13, v35
	v_fma_f32 v29, v12, v40, -v5
	v_add_f32_e32 v18, v21, v23
	v_sub_f32_e32 v33, v51, v52
	v_mul_f32_e32 v40, 0xbf68dda4, v32
	v_mov_b32_e32 v3, v39
	v_mul_f32_e32 v6, v6, v35
	v_fma_f32 v26, v14, v30, -v17
	v_fmac_f32_e32 v56, v12, v41
	v_add_f32_e32 v19, v24, v22
	v_sub_f32_e32 v35, v53, v54
	v_mul_f32_e32 v41, 0xbf7d64f0, v33
	v_mov_b32_e32 v4, v40
	v_fmac_f32_e32 v3, 0x3f575c64, v18
	v_fma_f32 v27, v13, v34, -v6
	v_add_f32_e32 v34, v26, v25
	v_sub_f32_e32 v37, v55, v56
	v_mul_f32_e32 v46, 0xbf4178ce, v35
	v_mov_b32_e32 v5, v41
	v_fmac_f32_e32 v4, 0x3ed4b147, v19
	v_add_f32_e32 v3, v47, v3
	v_fma_f32 v30, v49, v38, -v10
	v_add_f32_e32 v36, v28, v27
	v_mul_f32_e32 v48, 0xbe903f40, v37
	v_mov_b32_e32 v6, v46
	v_fmac_f32_e32 v5, 0xbe11bafb, v34
	v_add_f32_e32 v3, v3, v4
	v_add_f32_e32 v38, v30, v29
	v_mov_b32_e32 v7, v48
	v_fmac_f32_e32 v6, 0xbf27a4f4, v36
	v_add_f32_e32 v3, v3, v5
	v_sub_f32_e32 v16, v21, v23
	v_fmac_f32_e32 v7, 0xbf75a155, v38
	v_add_f32_e32 v3, v3, v6
	v_add_f32_e32 v49, v0, v45
	v_mul_f32_e32 v57, 0xbf0a6770, v16
	v_sub_f32_e32 v17, v24, v22
	v_add_f32_e32 v4, v3, v7
	v_fma_f32 v3, v49, s0, -v57
	v_add_f32_e32 v58, v20, v50
	v_mul_f32_e32 v59, 0xbf68dda4, v17
	v_sub_f32_e32 v61, v26, v25
	v_add_f32_e32 v3, v9, v3
	v_fma_f32 v5, v58, s1, -v59
	;; [unrolled: 5-line block ×4, first 2 shown]
	v_add_f32_e32 v66, v55, v56
	v_mul_f32_e32 v68, 0xbe903f40, v67
	v_add_f32_e32 v3, v3, v5
	v_fma_f32 v5, v66, s6, -v68
	v_mul_f32_e32 v14, 0xbf7d64f0, v31
	v_add_f32_e32 v3, v3, v5
	v_mov_b32_e32 v5, v14
	v_mul_f32_e32 v15, 0x3e903f40, v32
	v_fmac_f32_e32 v5, 0xbe11bafb, v18
	v_mov_b32_e32 v6, v15
	v_add_f32_e32 v5, v47, v5
	v_fmac_f32_e32 v6, 0xbf75a155, v19
	v_mul_f32_e32 v69, 0x3f68dda4, v33
	v_add_f32_e32 v5, v5, v6
	v_mov_b32_e32 v6, v69
	v_fmac_f32_e32 v6, 0x3ed4b147, v34
	v_mul_f32_e32 v70, 0xbf0a6770, v35
	v_add_f32_e32 v5, v5, v6
	v_mov_b32_e32 v6, v70
	v_fmac_f32_e32 v6, 0x3f575c64, v36
	v_mul_f32_e32 v71, 0xbf7d64f0, v16
	v_add_f32_e32 v5, v5, v6
	v_fma_f32 v6, v49, s2, -v71
	v_mul_f32_e32 v72, 0x3e903f40, v17
	v_add_f32_e32 v6, v9, v6
	v_fma_f32 v7, v58, s6, -v72
	;; [unrolled: 3-line block ×4, first 2 shown]
	v_mul_f32_e32 v75, 0xbf4178ce, v37
	v_add_f32_e32 v7, v6, v7
	v_mov_b32_e32 v6, v75
	v_fmac_f32_e32 v6, 0xbf27a4f4, v38
	v_mul_f32_e32 v76, 0xbf4178ce, v67
	v_add_f32_e32 v6, v5, v6
	v_fma_f32 v5, v66, s3, -v76
	v_mul_f32_e32 v10, 0xbe903f40, v31
	v_add_f32_e32 v5, v7, v5
	v_mov_b32_e32 v7, v10
	v_mul_f32_e32 v11, 0x3f0a6770, v32
	v_fmac_f32_e32 v7, 0xbf75a155, v18
	v_mov_b32_e32 v8, v11
	v_add_f32_e32 v7, v47, v7
	v_fmac_f32_e32 v8, 0x3f575c64, v19
	v_mul_f32_e32 v12, 0xbf4178ce, v33
	v_add_f32_e32 v7, v7, v8
	v_mov_b32_e32 v8, v12
	v_fmac_f32_e32 v8, 0xbf27a4f4, v34
	v_mul_f32_e32 v13, 0x3f68dda4, v35
	v_add_f32_e32 v7, v7, v8
	v_mov_b32_e32 v8, v13
	v_fmac_f32_e32 v8, 0x3ed4b147, v36
	v_mul_f32_e32 v77, 0xbe903f40, v16
	v_add_f32_e32 v7, v7, v8
	v_fma_f32 v8, v49, s6, -v77
	v_mul_f32_e32 v78, 0x3f0a6770, v17
	v_add_f32_e32 v8, v9, v8
	v_fma_f32 v79, v58, s0, -v78
	v_fma_f32 v10, v18, s6, -v10
	v_add_f32_e32 v8, v8, v79
	v_mul_f32_e32 v79, 0xbf4178ce, v61
	v_add_f32_e32 v10, v47, v10
	v_fma_f32 v11, v19, s0, -v11
	v_fma_f32 v80, v60, s3, -v79
	v_add_f32_e32 v10, v10, v11
	v_fma_f32 v11, v34, s3, -v12
	v_add_f32_e32 v8, v8, v80
	v_mul_f32_e32 v80, 0x3f68dda4, v64
	v_add_f32_e32 v10, v10, v11
	v_fma_f32 v11, v36, s1, -v13
	v_fmac_f32_e32 v77, 0xbf75a155, v49
	v_fma_f32 v81, v63, s1, -v80
	v_mul_f32_e32 v82, 0xbf7d64f0, v37
	v_add_f32_e32 v10, v10, v11
	v_add_f32_e32 v11, v9, v77
	v_fmac_f32_e32 v78, 0x3f575c64, v58
	v_add_f32_e32 v81, v8, v81
	v_mov_b32_e32 v8, v82
	v_add_f32_e32 v11, v11, v78
	v_fmac_f32_e32 v79, 0xbf27a4f4, v60
	v_fmac_f32_e32 v8, 0xbe11bafb, v38
	v_mul_f32_e32 v83, 0xbf7d64f0, v67
	v_add_f32_e32 v11, v11, v79
	v_fmac_f32_e32 v80, 0x3ed4b147, v63
	v_add_f32_e32 v8, v7, v8
	v_fma_f32 v7, v66, s2, -v83
	v_add_f32_e32 v12, v11, v80
	v_fma_f32 v11, v38, s2, -v82
	v_fmac_f32_e32 v83, 0xbe11bafb, v66
	v_mul_f32_e32 v77, 0xbf27a4f4, v18
	v_fma_f32 v14, v18, s2, -v14
	v_add_f32_e32 v11, v10, v11
	v_add_f32_e32 v10, v12, v83
	v_mov_b32_e32 v12, v77
	v_mul_f32_e32 v78, 0xbe11bafb, v19
	v_add_f32_e32 v14, v47, v14
	v_fma_f32 v15, v19, s6, -v15
	v_fmac_f32_e32 v12, 0x3f4178ce, v31
	v_mov_b32_e32 v13, v78
	v_add_f32_e32 v14, v14, v15
	v_fma_f32 v15, v34, s1, -v69
	v_add_f32_e32 v12, v47, v12
	v_fmac_f32_e32 v13, 0xbf7d64f0, v32
	v_mul_f32_e32 v79, 0x3f575c64, v34
	v_add_f32_e32 v14, v14, v15
	v_fma_f32 v15, v36, s0, -v70
	v_fmac_f32_e32 v71, 0xbe11bafb, v49
	v_add_f32_e32 v12, v12, v13
	v_mov_b32_e32 v13, v79
	v_add_f32_e32 v14, v14, v15
	v_add_f32_e32 v15, v9, v71
	v_fmac_f32_e32 v72, 0xbf75a155, v58
	v_fmac_f32_e32 v13, 0x3f0a6770, v33
	v_mul_f32_e32 v80, 0xbf75a155, v36
	v_add_f32_e32 v15, v15, v72
	v_fmac_f32_e32 v73, 0x3ed4b147, v60
	v_add_f32_e32 v0, v9, v0
	v_add_f32_e32 v12, v12, v13
	v_mov_b32_e32 v13, v80
	v_add_f32_e32 v15, v15, v73
	v_fmac_f32_e32 v74, 0x3f575c64, v63
	v_add_f32_e32 v0, v0, v20
	v_add_f32_e32 v7, v81, v7
	v_fmac_f32_e32 v13, 0x3e903f40, v35
	v_mul_f32_e32 v81, 0xbf4178ce, v16
	v_add_f32_e32 v69, v15, v74
	v_fma_f32 v15, v38, s3, -v75
	v_fmac_f32_e32 v76, 0xbf27a4f4, v66
	v_add_f32_e32 v0, v0, v51
	v_add_f32_e32 v12, v12, v13
	v_mov_b32_e32 v13, v81
	v_mul_f32_e32 v82, 0x3f7d64f0, v17
	v_add_f32_e32 v15, v14, v15
	v_add_f32_e32 v14, v69, v76
	v_mul_f32_e32 v69, 0x3ed4b147, v18
	v_add_f32_e32 v0, v0, v53
	v_fmac_f32_e32 v13, 0xbf27a4f4, v49
	v_mov_b32_e32 v83, v82
	v_mov_b32_e32 v70, v69
	v_mul_f32_e32 v71, 0xbf27a4f4, v19
	v_add_f32_e32 v21, v21, v47
	v_add_f32_e32 v0, v0, v55
	;; [unrolled: 1-line block ×3, first 2 shown]
	v_fmac_f32_e32 v83, 0xbe11bafb, v58
	v_fmac_f32_e32 v70, 0x3f68dda4, v31
	v_mov_b32_e32 v72, v71
	v_add_f32_e32 v21, v21, v24
	v_add_f32_e32 v0, v0, v56
	;; [unrolled: 1-line block ×3, first 2 shown]
	v_mul_f32_e32 v83, 0xbf0a6770, v61
	v_add_f32_e32 v70, v47, v70
	v_fmac_f32_e32 v72, 0x3f4178ce, v32
	v_add_f32_e32 v21, v21, v26
	v_add_f32_e32 v0, v54, v0
	v_mov_b32_e32 v84, v83
	v_add_f32_e32 v70, v70, v72
	v_mul_f32_e32 v72, 0xbf75a155, v34
	v_add_f32_e32 v21, v21, v28
	v_add_f32_e32 v0, v52, v0
	v_fmac_f32_e32 v84, 0x3f575c64, v60
	v_mov_b32_e32 v73, v72
	v_add_f32_e32 v21, v21, v30
	v_add_f32_e32 v0, v50, v0
	v_fmac_f32_e32 v77, 0xbf4178ce, v31
	v_add_f32_e32 v13, v13, v84
	v_mul_f32_e32 v84, 0xbe903f40, v64
	v_fmac_f32_e32 v73, 0xbe903f40, v33
	v_add_f32_e32 v21, v21, v29
	v_add_f32_e32 v20, v45, v0
	;; [unrolled: 1-line block ×3, first 2 shown]
	v_fmac_f32_e32 v78, 0x3f7d64f0, v32
	v_mov_b32_e32 v85, v84
	v_add_f32_e32 v70, v70, v73
	v_mul_f32_e32 v73, 0xbe11bafb, v36
	v_add_f32_e32 v21, v27, v21
	v_add_f32_e32 v0, v0, v78
	v_fmac_f32_e32 v79, 0xbf0a6770, v33
	v_fmac_f32_e32 v85, 0xbf75a155, v63
	v_mul_f32_e32 v86, 0x3ed4b147, v38
	v_mov_b32_e32 v74, v73
	v_add_f32_e32 v21, v25, v21
	v_add_f32_e32 v0, v0, v79
	v_fmac_f32_e32 v80, 0xbe903f40, v35
	v_add_f32_e32 v85, v13, v85
	v_mov_b32_e32 v13, v86
	v_fmac_f32_e32 v74, 0xbf7d64f0, v35
	v_add_f32_e32 v21, v22, v21
	v_add_f32_e32 v0, v0, v80
	v_fmac_f32_e32 v86, 0x3f68dda4, v37
	v_add_f32_e32 v70, v70, v74
	v_mul_f32_e32 v74, 0xbf68dda4, v16
	v_add_f32_e32 v21, v23, v21
	v_add_f32_e32 v23, v0, v86
	v_fma_f32 v0, v49, s3, -v81
	v_mov_b32_e32 v16, v74
	v_mul_f32_e32 v75, 0xbf4178ce, v17
	v_add_f32_e32 v0, v9, v0
	v_fma_f32 v22, v58, s2, -v82
	v_fmac_f32_e32 v16, 0x3ed4b147, v49
	v_mov_b32_e32 v17, v75
	v_add_f32_e32 v0, v0, v22
	v_fma_f32 v22, v60, s0, -v83
	v_mul_f32_e32 v87, 0x3f68dda4, v67
	v_add_f32_e32 v16, v9, v16
	v_fmac_f32_e32 v17, 0xbf27a4f4, v58
	v_mul_f32_e32 v61, 0x3e903f40, v61
	v_add_f32_e32 v0, v0, v22
	v_fma_f32 v22, v63, s6, -v84
	v_add_f32_e32 v16, v16, v17
	v_mov_b32_e32 v17, v61
	v_add_f32_e32 v0, v0, v22
	v_fma_f32 v22, v66, s1, -v87
	v_fmac_f32_e32 v69, 0xbf68dda4, v31
	v_fmac_f32_e32 v17, 0xbf75a155, v60
	v_mul_f32_e32 v64, 0x3f7d64f0, v64
	v_add_f32_e32 v22, v0, v22
	v_add_f32_e32 v0, v47, v69
	v_fmac_f32_e32 v71, 0xbf4178ce, v32
	v_add_f32_e32 v16, v16, v17
	v_mov_b32_e32 v17, v64
	v_add_f32_e32 v0, v0, v71
	v_fmac_f32_e32 v72, 0x3e903f40, v33
	v_fmac_f32_e32 v17, 0xbe11bafb, v63
	v_mul_f32_e32 v76, 0x3f575c64, v38
	v_add_f32_e32 v0, v0, v72
	v_fmac_f32_e32 v73, 0x3f7d64f0, v35
	v_add_f32_e32 v16, v16, v17
	v_mov_b32_e32 v17, v76
	v_fma_f32 v18, v18, s0, -v39
	v_add_f32_e32 v0, v0, v73
	v_fmac_f32_e32 v76, 0x3f0a6770, v37
	v_mad_u64_u32 v[26:27], s[4:5], s20, v44, 0
	v_fma_f32 v19, v19, s1, -v40
	v_add_f32_e32 v18, v47, v18
	v_fmac_f32_e32 v57, 0x3f575c64, v49
	v_add_f32_e32 v25, v0, v76
	v_fma_f32 v0, v49, s1, -v74
	v_add_f32_e32 v18, v18, v19
	v_fma_f32 v19, v34, s2, -v41
	v_add_f32_e32 v34, v9, v57
	v_add_f32_e32 v0, v9, v0
	v_fma_f32 v9, v58, s3, -v75
	v_add_f32_e32 v0, v0, v9
	v_fma_f32 v9, v60, s6, -v61
	v_add_f32_e32 v9, v0, v9
	v_mov_b32_e32 v0, v27
	v_add_f32_e32 v18, v18, v19
	v_fma_f32 v19, v36, s3, -v46
	v_fma_f32 v24, v63, s2, -v64
	v_mad_u64_u32 v[27:28], s[2:3], s21, v44, v[0:1]
	v_mul_f32_e32 v67, 0x3f0a6770, v67
	v_lshlrev_b64 v[28:29], 3, v[42:43]
	v_add_f32_e32 v0, v9, v24
	v_fma_f32 v9, v66, s0, -v67
	v_add_f32_e32 v24, v0, v9
	v_mov_b32_e32 v0, s11
	v_add_co_u32_e32 v9, vcc, s10, v28
	v_addc_co_u32_e32 v28, vcc, v0, v29, vcc
	v_lshlrev_b64 v[0:1], 3, v[1:2]
	v_fmac_f32_e32 v59, 0x3ed4b147, v58
	v_add_co_u32_e32 v30, vcc, v9, v0
	v_add_u32_e32 v9, 0x6e, v44
	v_addc_co_u32_e32 v31, vcc, v28, v1, vcc
	v_lshlrev_b64 v[0:1], 3, v[26:27]
	v_mad_u64_u32 v[26:27], s[0:1], s20, v9, 0
	v_add_co_u32_e32 v0, vcc, v30, v0
	v_mov_b32_e32 v2, v27
	v_mad_u64_u32 v[27:28], s[0:1], s21, v9, v[2:3]
	v_add_u32_e32 v9, 0xdc, v44
	v_mad_u64_u32 v[28:29], s[0:1], s20, v9, 0
	v_addc_co_u32_e32 v1, vcc, v31, v1, vcc
	v_add_f32_e32 v34, v34, v59
	v_fmac_f32_e32 v62, 0xbe11bafb, v60
	global_store_dwordx2 v[0:1], v[20:21], off
	v_lshlrev_b64 v[0:1], 3, v[26:27]
	v_add_f32_e32 v34, v34, v62
	v_fmac_f32_e32 v65, 0xbf27a4f4, v63
	v_add_f32_e32 v18, v18, v19
	v_fma_f32 v19, v38, s6, -v48
	v_add_f32_e32 v34, v34, v65
	v_fmac_f32_e32 v68, 0xbf75a155, v66
	v_mov_b32_e32 v2, v29
	v_add_co_u32_e32 v0, vcc, v30, v0
	v_add_f32_e32 v19, v18, v19
	v_add_f32_e32 v18, v34, v68
	v_mad_u64_u32 v[20:21], s[0:1], s21, v9, v[2:3]
	v_addc_co_u32_e32 v1, vcc, v31, v1, vcc
	v_add_u32_e32 v9, 0x14a, v44
	global_store_dwordx2 v[0:1], v[18:19], off
	v_mad_u64_u32 v[18:19], s[0:1], s20, v9, 0
	v_mov_b32_e32 v29, v20
	v_fmac_f32_e32 v17, 0xbf0a6770, v37
	v_mov_b32_e32 v2, v19
	v_lshlrev_b64 v[0:1], 3, v[28:29]
	v_mad_u64_u32 v[19:20], s[0:1], s21, v9, v[2:3]
	v_add_f32_e32 v17, v70, v17
	v_mov_b32_e32 v70, v67
	v_add_u32_e32 v9, 0x1b8, v44
	v_fmac_f32_e32 v70, 0x3f575c64, v66
	v_add_co_u32_e32 v0, vcc, v30, v0
	v_mad_u64_u32 v[20:21], s[0:1], s20, v9, 0
	v_add_f32_e32 v16, v16, v70
	v_addc_co_u32_e32 v1, vcc, v31, v1, vcc
	global_store_dwordx2 v[0:1], v[16:17], off
	v_lshlrev_b64 v[0:1], 3, v[18:19]
	v_mov_b32_e32 v2, v21
	v_add_co_u32_e32 v0, vcc, v30, v0
	v_mad_u64_u32 v[16:17], s[0:1], s21, v9, v[2:3]
	v_addc_co_u32_e32 v1, vcc, v31, v1, vcc
	v_add_u32_e32 v9, 0x226, v44
	global_store_dwordx2 v[0:1], v[14:15], off
	v_mad_u64_u32 v[14:15], s[0:1], s20, v9, 0
	v_mov_b32_e32 v21, v16
	v_fmac_f32_e32 v13, 0xbf68dda4, v37
	v_mov_b32_e32 v2, v15
	v_lshlrev_b64 v[0:1], 3, v[20:21]
	v_mad_u64_u32 v[15:16], s[0:1], s21, v9, v[2:3]
	v_add_f32_e32 v13, v12, v13
	v_mov_b32_e32 v12, v87
	v_fmac_f32_e32 v12, 0x3ed4b147, v66
	v_add_co_u32_e32 v0, vcc, v30, v0
	v_add_f32_e32 v12, v85, v12
	v_addc_co_u32_e32 v1, vcc, v31, v1, vcc
	v_add_u32_e32 v9, 0x294, v44
	v_mad_u64_u32 v[16:17], s[0:1], s20, v9, 0
	global_store_dwordx2 v[0:1], v[12:13], off
	v_lshlrev_b64 v[0:1], 3, v[14:15]
	v_mov_b32_e32 v2, v17
	v_add_co_u32_e32 v0, vcc, v30, v0
	v_addc_co_u32_e32 v1, vcc, v31, v1, vcc
	global_store_dwordx2 v[0:1], v[10:11], off
	v_add_u32_e32 v11, 0x302, v44
	v_mad_u64_u32 v[12:13], s[0:1], s21, v9, v[2:3]
	v_mad_u64_u32 v[9:10], s[0:1], s20, v11, 0
	v_add_u32_e32 v13, 0x370, v44
	v_mov_b32_e32 v17, v12
	v_mov_b32_e32 v2, v10
	v_mad_u64_u32 v[10:11], s[0:1], s21, v11, v[2:3]
	v_mad_u64_u32 v[11:12], s[0:1], s20, v13, 0
	v_lshlrev_b64 v[0:1], 3, v[16:17]
	v_add_co_u32_e32 v0, vcc, v30, v0
	v_addc_co_u32_e32 v1, vcc, v31, v1, vcc
	v_mov_b32_e32 v2, v12
	global_store_dwordx2 v[0:1], v[7:8], off
	v_mad_u64_u32 v[7:8], s[0:1], s21, v13, v[2:3]
	v_lshlrev_b64 v[0:1], 3, v[9:10]
	v_add_u32_e32 v9, 0x3de, v44
	v_mov_b32_e32 v12, v7
	v_mad_u64_u32 v[7:8], s[0:1], s20, v9, 0
	v_add_co_u32_e32 v0, vcc, v30, v0
	v_addc_co_u32_e32 v1, vcc, v31, v1, vcc
	v_mov_b32_e32 v2, v8
	global_store_dwordx2 v[0:1], v[22:23], off
	v_lshlrev_b64 v[0:1], 3, v[11:12]
	v_mad_u64_u32 v[8:9], s[0:1], s21, v9, v[2:3]
	v_add_u32_e32 v11, 0x44c, v44
	v_mad_u64_u32 v[9:10], s[0:1], s20, v11, 0
	v_add_co_u32_e32 v0, vcc, v30, v0
	v_addc_co_u32_e32 v1, vcc, v31, v1, vcc
	v_mov_b32_e32 v2, v10
	global_store_dwordx2 v[0:1], v[5:6], off
	v_mad_u64_u32 v[5:6], s[0:1], s21, v11, v[2:3]
	v_lshlrev_b64 v[0:1], 3, v[7:8]
	v_add_co_u32_e32 v0, vcc, v30, v0
	v_addc_co_u32_e32 v1, vcc, v31, v1, vcc
	v_mov_b32_e32 v10, v5
	global_store_dwordx2 v[0:1], v[24:25], off
	v_lshlrev_b64 v[0:1], 3, v[9:10]
	v_add_co_u32_e32 v0, vcc, v30, v0
	v_addc_co_u32_e32 v1, vcc, v31, v1, vcc
	global_store_dwordx2 v[0:1], v[3:4], off
.LBB0_29:
	s_endpgm
	.section	.rodata,"a",@progbits
	.p2align	6, 0x0
	.amdhsa_kernel fft_rtc_back_len1210_factors_2_5_11_11_wgs_110_tpt_110_halfLds_sp_op_CI_CI_sbrr_dirReg
		.amdhsa_group_segment_fixed_size 0
		.amdhsa_private_segment_fixed_size 0
		.amdhsa_kernarg_size 104
		.amdhsa_user_sgpr_count 6
		.amdhsa_user_sgpr_private_segment_buffer 1
		.amdhsa_user_sgpr_dispatch_ptr 0
		.amdhsa_user_sgpr_queue_ptr 0
		.amdhsa_user_sgpr_kernarg_segment_ptr 1
		.amdhsa_user_sgpr_dispatch_id 0
		.amdhsa_user_sgpr_flat_scratch_init 0
		.amdhsa_user_sgpr_private_segment_size 0
		.amdhsa_uses_dynamic_stack 0
		.amdhsa_system_sgpr_private_segment_wavefront_offset 0
		.amdhsa_system_sgpr_workgroup_id_x 1
		.amdhsa_system_sgpr_workgroup_id_y 0
		.amdhsa_system_sgpr_workgroup_id_z 0
		.amdhsa_system_sgpr_workgroup_info 0
		.amdhsa_system_vgpr_workitem_id 0
		.amdhsa_next_free_vgpr 88
		.amdhsa_next_free_sgpr 32
		.amdhsa_reserve_vcc 1
		.amdhsa_reserve_flat_scratch 0
		.amdhsa_float_round_mode_32 0
		.amdhsa_float_round_mode_16_64 0
		.amdhsa_float_denorm_mode_32 3
		.amdhsa_float_denorm_mode_16_64 3
		.amdhsa_dx10_clamp 1
		.amdhsa_ieee_mode 1
		.amdhsa_fp16_overflow 0
		.amdhsa_exception_fp_ieee_invalid_op 0
		.amdhsa_exception_fp_denorm_src 0
		.amdhsa_exception_fp_ieee_div_zero 0
		.amdhsa_exception_fp_ieee_overflow 0
		.amdhsa_exception_fp_ieee_underflow 0
		.amdhsa_exception_fp_ieee_inexact 0
		.amdhsa_exception_int_div_zero 0
	.end_amdhsa_kernel
	.text
.Lfunc_end0:
	.size	fft_rtc_back_len1210_factors_2_5_11_11_wgs_110_tpt_110_halfLds_sp_op_CI_CI_sbrr_dirReg, .Lfunc_end0-fft_rtc_back_len1210_factors_2_5_11_11_wgs_110_tpt_110_halfLds_sp_op_CI_CI_sbrr_dirReg
                                        ; -- End function
	.section	.AMDGPU.csdata,"",@progbits
; Kernel info:
; codeLenInByte = 10048
; NumSgprs: 36
; NumVgprs: 88
; ScratchSize: 0
; MemoryBound: 0
; FloatMode: 240
; IeeeMode: 1
; LDSByteSize: 0 bytes/workgroup (compile time only)
; SGPRBlocks: 4
; VGPRBlocks: 21
; NumSGPRsForWavesPerEU: 36
; NumVGPRsForWavesPerEU: 88
; Occupancy: 2
; WaveLimiterHint : 1
; COMPUTE_PGM_RSRC2:SCRATCH_EN: 0
; COMPUTE_PGM_RSRC2:USER_SGPR: 6
; COMPUTE_PGM_RSRC2:TRAP_HANDLER: 0
; COMPUTE_PGM_RSRC2:TGID_X_EN: 1
; COMPUTE_PGM_RSRC2:TGID_Y_EN: 0
; COMPUTE_PGM_RSRC2:TGID_Z_EN: 0
; COMPUTE_PGM_RSRC2:TIDIG_COMP_CNT: 0
	.type	__hip_cuid_e2950670232c1b1e,@object ; @__hip_cuid_e2950670232c1b1e
	.section	.bss,"aw",@nobits
	.globl	__hip_cuid_e2950670232c1b1e
__hip_cuid_e2950670232c1b1e:
	.byte	0                               ; 0x0
	.size	__hip_cuid_e2950670232c1b1e, 1

	.ident	"AMD clang version 19.0.0git (https://github.com/RadeonOpenCompute/llvm-project roc-6.4.0 25133 c7fe45cf4b819c5991fe208aaa96edf142730f1d)"
	.section	".note.GNU-stack","",@progbits
	.addrsig
	.addrsig_sym __hip_cuid_e2950670232c1b1e
	.amdgpu_metadata
---
amdhsa.kernels:
  - .args:
      - .actual_access:  read_only
        .address_space:  global
        .offset:         0
        .size:           8
        .value_kind:     global_buffer
      - .offset:         8
        .size:           8
        .value_kind:     by_value
      - .actual_access:  read_only
        .address_space:  global
        .offset:         16
        .size:           8
        .value_kind:     global_buffer
      - .actual_access:  read_only
        .address_space:  global
        .offset:         24
        .size:           8
        .value_kind:     global_buffer
      - .actual_access:  read_only
        .address_space:  global
        .offset:         32
        .size:           8
        .value_kind:     global_buffer
      - .offset:         40
        .size:           8
        .value_kind:     by_value
      - .actual_access:  read_only
        .address_space:  global
        .offset:         48
        .size:           8
        .value_kind:     global_buffer
      - .actual_access:  read_only
        .address_space:  global
        .offset:         56
        .size:           8
        .value_kind:     global_buffer
      - .offset:         64
        .size:           4
        .value_kind:     by_value
      - .actual_access:  read_only
        .address_space:  global
        .offset:         72
        .size:           8
        .value_kind:     global_buffer
      - .actual_access:  read_only
        .address_space:  global
        .offset:         80
        .size:           8
        .value_kind:     global_buffer
      - .actual_access:  read_only
        .address_space:  global
        .offset:         88
        .size:           8
        .value_kind:     global_buffer
      - .actual_access:  write_only
        .address_space:  global
        .offset:         96
        .size:           8
        .value_kind:     global_buffer
    .group_segment_fixed_size: 0
    .kernarg_segment_align: 8
    .kernarg_segment_size: 104
    .language:       OpenCL C
    .language_version:
      - 2
      - 0
    .max_flat_workgroup_size: 110
    .name:           fft_rtc_back_len1210_factors_2_5_11_11_wgs_110_tpt_110_halfLds_sp_op_CI_CI_sbrr_dirReg
    .private_segment_fixed_size: 0
    .sgpr_count:     36
    .sgpr_spill_count: 0
    .symbol:         fft_rtc_back_len1210_factors_2_5_11_11_wgs_110_tpt_110_halfLds_sp_op_CI_CI_sbrr_dirReg.kd
    .uniform_work_group_size: 1
    .uses_dynamic_stack: false
    .vgpr_count:     88
    .vgpr_spill_count: 0
    .wavefront_size: 64
amdhsa.target:   amdgcn-amd-amdhsa--gfx906
amdhsa.version:
  - 1
  - 2
...

	.end_amdgpu_metadata
